;; amdgpu-corpus repo=FlagOpen/FlagGems kind=triton arch=gfx950 opt=O3 lang=triton
	.amdgcn_target "amdgcn-amd-amdhsa--gfx950"
	.amdhsa_code_object_version 5
	.text
	.globl	mean_kernel_2                   ; -- Begin function mean_kernel_2
	.p2align	8
	.type	mean_kernel_2,@function
mean_kernel_2:                          ; @mean_kernel_2
.Lfunc_begin0:
	.cfi_sections .debug_frame
	.cfi_startproc
; %bb.9:
	.file	1 "/root/src/amdgpu-assembly/repos/FlagOpen__FlagGems/triton_aot_kernels" "mean_aot.py"
	.loc	1 33 0 prologue_end             ; mean_aot.py:33:0
	s_load_dwordx2 s[2:3], s[0:1], 0x0
	s_load_dwordx8 s[4:11], s[0:1], 0x8
	s_waitcnt lgkmcnt(0)
	s_branch .LBB0_0
	.loc	1 0 0 is_stmt 0                 ; :0:0
.Ltmp0:
	.p2align	8
; %bb.10:
.LBB0_0:
	s_mov_b64 s[8:9], s[2:3]
.Ltmp1:
	.loc	1 48 18 is_stmt 1               ; mean_aot.py:48:18
	v_readfirstlane_b32 s2, v0
	.loc	1 41 26                         ; mean_aot.py:41:26
	v_and_b32_e32 v1, 63, v0
	s_and_b32 s0, s2, 0xc0
	v_or_b32_e32 v2, s0, v1
	v_or_b32_e32 v3, 0x100, v2
	.loc	1 44 22                         ; mean_aot.py:44:22
	v_lshlrev_b32_e32 v6, 2, v2
	v_bfrev_b32_e32 v7, 1
	.loc	1 43 20                         ; mean_aot.py:43:20
	v_cmp_gt_i32_e32 vcc, s7, v2
	.loc	1 41 26                         ; mean_aot.py:41:26
	v_or_b32_e32 v4, 0x200, v2
	v_or_b32_e32 v5, 0x300, v2
	.loc	1 44 22                         ; mean_aot.py:44:22
	v_cndmask_b32_e32 v2, v7, v6, vcc
	v_lshlrev_b32_e32 v6, 2, v3
	.loc	1 43 20                         ; mean_aot.py:43:20
	v_cmp_gt_i32_e32 vcc, s7, v3
	.loc	1 44 22                         ; mean_aot.py:44:22
	s_and_b32 s9, s9, 0xffff
	s_mov_b32 s11, 0x27000
	v_cndmask_b32_e32 v3, v7, v6, vcc
	v_lshlrev_b32_e32 v6, 2, v4
	.loc	1 43 20                         ; mean_aot.py:43:20
	v_cmp_gt_i32_e32 vcc, s7, v4
	s_mov_b32 s10, 0x7ffffffe
	.loc	1 44 22                         ; mean_aot.py:44:22
	s_nop 0
	v_cndmask_b32_e32 v4, v7, v6, vcc
	v_lshlrev_b32_e32 v6, 2, v5
	.loc	1 43 20                         ; mean_aot.py:43:20
	v_cmp_gt_i32_e32 vcc, s7, v5
	.loc	1 44 22                         ; mean_aot.py:44:22
	s_nop 1
	v_cndmask_b32_e32 v5, v7, v6, vcc
	buffer_load_dword v6, v2, s[8:11], 0 offen
	buffer_load_dword v7, v3, s[8:11], 0 offen
	;; [unrolled: 1-line block ×4, first 2 shown]
.Ltmp2:
	.file	2 "/root/.local/lib/python3.13/site-packages/triton/language" "standard.py"
	.loc	2 293 36                        ; standard.py:293:36 @[ mean_aot.py:45:21 ]
	v_cmp_eq_u32_e32 vcc, 0, v1
.Ltmp3:
	.loc	2 263 15                        ; standard.py:263:15 @[ standard.py:293:36 @[ mean_aot.py:45:21 ] ]
	s_waitcnt vmcnt(2)
	v_add_f32_e32 v2, v6, v7
	s_waitcnt vmcnt(1)
	v_add_f32_e32 v2, v2, v8
	s_waitcnt vmcnt(0)
	v_add_f32_e32 v2, v2, v9
	s_nop 1
	v_add_f32_dpp v2, v2, v2 row_shr:8 row_mask:0xf bank_mask:0xf bound_ctrl:1
	s_nop 1
	v_add_f32_dpp v2, v2, v2 row_shr:4 row_mask:0xf bank_mask:0xf bound_ctrl:1
	;; [unrolled: 2-line block ×4, first 2 shown]
.Ltmp4:
	.loc	2 293 36                        ; standard.py:293:36 @[ mean_aot.py:45:21 ]
	v_mov_b32_e32 v3, v2
	s_nop 1
	v_mov_b32_dpp v3, v3 row_bcast:15 row_mask:0xa bank_mask:0xf bound_ctrl:1
.Ltmp5:
	.loc	2 263 15                        ; standard.py:263:15 @[ standard.py:293:36 @[ mean_aot.py:45:21 ] ]
	v_add_f32_e32 v2, v3, v2
	s_nop 1
	v_add_f32_dpp v2, v2, v2 row_bcast:31 row_mask:0xf bank_mask:0xf bound_ctrl:1
.Ltmp6:
	.loc	2 293 36                        ; standard.py:293:36 @[ mean_aot.py:45:21 ]
	s_nop 0
	v_readlane_b32 s3, v2, 63
	s_and_saveexec_b64 s[0:1], vcc
	s_cbranch_execz .LBB0_2
; %bb.1:
	.loc	2 0 36 is_stmt 0                ; standard.py:0:36
	s_lshr_b32 s7, s2, 4
	s_and_b32 s7, s7, 12
	s_add_i32 s7, s7, 0
	.loc	2 293 36                        ; standard.py:293:36 @[ mean_aot.py:45:21 ]
	v_mov_b32_e32 v2, s7
	v_mov_b32_e32 v3, s3
	ds_write_b32 v2, v3
.LBB0_2:
	.loc	2 0 36                          ; standard.py:0:36
	s_or_b64 exec, exec, s[0:1]
	.loc	2 293 36                        ; standard.py:293:36 @[ mean_aot.py:45:21 ]
	v_cmp_gt_u32_e32 vcc, 4, v0
	v_lshl_add_u32 v2, v0, 2, 0
.Ltmp7:
	.loc	1 45 21 is_stmt 1               ; mean_aot.py:45:21
	v_mov_b32_e32 v3, 0
.Ltmp8:
	.loc	2 293 36                        ; standard.py:293:36 @[ mean_aot.py:45:21 ]
	s_waitcnt lgkmcnt(0)
	s_barrier
	s_and_saveexec_b64 s[0:1], vcc
; %bb.3:
	ds_read_b32 v3, v2
; %bb.4:
	.loc	2 0 36 is_stmt 0                ; standard.py:0:36
	s_or_b64 exec, exec, s[0:1]
	.loc	2 293 36                        ; standard.py:293:36 @[ mean_aot.py:45:21 ]
	s_waitcnt lgkmcnt(0)
	v_mov_b32_e32 v4, v3
	v_and_b32_e32 v0, 3, v0
	v_cmp_eq_u32_e64 s[0:1], 0, v0
	v_mov_b32_dpp v4, v4 quad_perm:[2,3,0,1] row_mask:0xf bank_mask:0xf
.Ltmp9:
	.loc	2 263 15 is_stmt 1              ; standard.py:263:15 @[ standard.py:293:36 @[ mean_aot.py:45:21 ] ]
	v_add_f32_e32 v3, v3, v4
.Ltmp10:
	.loc	2 293 36                        ; standard.py:293:36 @[ mean_aot.py:45:21 ]
	v_mov_b32_e32 v4, v3
	s_and_b64 s[8:9], vcc, s[0:1]
	s_nop 0
	v_mov_b32_dpp v4, v4 quad_perm:[1,0,3,2] row_mask:0xf bank_mask:0xf
	s_and_saveexec_b64 s[0:1], s[8:9]
; %bb.5:
	.loc	2 0 36 is_stmt 0                ; standard.py:0:36
	v_add_f32_e32 v0, v3, v4
	.loc	2 293 36                        ; standard.py:293:36 @[ mean_aot.py:45:21 ]
	ds_write_b32 v2, v0
.Ltmp11:
; %bb.6:
	.loc	2 0 36                          ; standard.py:0:36
	s_or_b64 exec, exec, s[0:1]
	.loc	1 48 18 is_stmt 1               ; mean_aot.py:48:18
	s_lshr_b32 s0, s2, 6
	v_or_b32_e32 v0, s0, v1
	v_cmp_eq_u32_e32 vcc, 0, v0
.Ltmp12:
	.loc	2 293 36                        ; standard.py:293:36 @[ mean_aot.py:45:21 ]
	s_waitcnt lgkmcnt(0)
	s_barrier
.Ltmp13:
	.loc	1 48 18                         ; mean_aot.py:48:18
	s_and_saveexec_b64 s[0:1], vcc
	s_cbranch_execz .LBB0_8
; %bb.7:
.Ltmp14:
	.loc	2 293 36                        ; standard.py:293:36 @[ mean_aot.py:45:21 ]
	v_mov_b32_e32 v0, 0
	ds_read_b32 v1, v0
	v_cvt_f32_i32_e32 v2, s6
.Ltmp15:
	.loc	1 47 25                         ; mean_aot.py:47:25
	s_waitcnt lgkmcnt(0)
	v_div_scale_f32 v3, s[0:1], v2, v2, v1
	v_rcp_f32_e32 v4, v3
	v_div_scale_f32 v5, vcc, v1, v2, v1
	v_fma_f32 v6, -v3, v4, 1.0
	v_fmac_f32_e32 v4, v6, v4
	v_mul_f32_e32 v6, v5, v4
	v_fma_f32 v7, -v3, v6, v5
	v_fmac_f32_e32 v6, v7, v4
	v_fma_f32 v3, -v3, v6, v5
	v_div_fmas_f32 v3, v3, v4, v6
	v_div_fixup_f32 v1, v3, v2, v1
	.loc	1 48 18                         ; mean_aot.py:48:18
	global_store_dword v0, v1, s[4:5]
.LBB0_8:
	.loc	1 48 4 is_stmt 0                ; mean_aot.py:48:4
	s_endpgm
.Ltmp16:
	.section	.rodata,"a",@progbits
	.p2align	6, 0x0
	.amdhsa_kernel mean_kernel_2
		.amdhsa_group_segment_fixed_size 0
		.amdhsa_private_segment_fixed_size 0
		.amdhsa_kernarg_size 40
		.amdhsa_user_sgpr_count 12
		.amdhsa_user_sgpr_dispatch_ptr 0
		.amdhsa_user_sgpr_queue_ptr 0
		.amdhsa_user_sgpr_kernarg_segment_ptr 1
		.amdhsa_user_sgpr_dispatch_id 0
		.amdhsa_user_sgpr_kernarg_preload_length 10
		.amdhsa_user_sgpr_kernarg_preload_offset 0
		.amdhsa_user_sgpr_private_segment_size 0
		.amdhsa_uses_dynamic_stack 0
		.amdhsa_enable_private_segment 0
		.amdhsa_system_sgpr_workgroup_id_x 1
		.amdhsa_system_sgpr_workgroup_id_y 0
		.amdhsa_system_sgpr_workgroup_id_z 0
		.amdhsa_system_sgpr_workgroup_info 0
		.amdhsa_system_vgpr_workitem_id 0
		.amdhsa_next_free_vgpr 10
		.amdhsa_next_free_sgpr 12
		.amdhsa_accum_offset 12
		.amdhsa_reserve_vcc 1
		.amdhsa_reserve_xnack_mask 1
		.amdhsa_float_round_mode_32 0
		.amdhsa_float_round_mode_16_64 0
		.amdhsa_float_denorm_mode_32 3
		.amdhsa_float_denorm_mode_16_64 3
		.amdhsa_dx10_clamp 1
		.amdhsa_ieee_mode 1
		.amdhsa_fp16_overflow 0
		.amdhsa_tg_split 0
		.amdhsa_exception_fp_ieee_invalid_op 0
		.amdhsa_exception_fp_denorm_src 0
		.amdhsa_exception_fp_ieee_div_zero 0
		.amdhsa_exception_fp_ieee_overflow 0
		.amdhsa_exception_fp_ieee_underflow 0
		.amdhsa_exception_fp_ieee_inexact 0
		.amdhsa_exception_int_div_zero 0
	.end_amdhsa_kernel
	.text
.Lfunc_end0:
	.size	mean_kernel_2, .Lfunc_end0-mean_kernel_2
	.cfi_endproc
                                        ; -- End function
	.set mean_kernel_2.num_vgpr, 10
	.set mean_kernel_2.num_agpr, 0
	.set mean_kernel_2.numbered_sgpr, 12
	.set mean_kernel_2.num_named_barrier, 0
	.set mean_kernel_2.private_seg_size, 0
	.set mean_kernel_2.uses_vcc, 1
	.set mean_kernel_2.uses_flat_scratch, 0
	.set mean_kernel_2.has_dyn_sized_stack, 0
	.set mean_kernel_2.has_recursion, 0
	.set mean_kernel_2.has_indirect_call, 0
	.section	.AMDGPU.csdata,"",@progbits
; Kernel info:
; codeLenInByte = 824
; TotalNumSgprs: 18
; NumVgprs: 10
; NumAgprs: 0
; TotalNumVgprs: 10
; ScratchSize: 0
; MemoryBound: 0
; FloatMode: 240
; IeeeMode: 1
; LDSByteSize: 0 bytes/workgroup (compile time only)
; SGPRBlocks: 2
; VGPRBlocks: 1
; NumSGPRsForWavesPerEU: 18
; NumVGPRsForWavesPerEU: 10
; AccumOffset: 12
; Occupancy: 8
; WaveLimiterHint : 0
; COMPUTE_PGM_RSRC2:SCRATCH_EN: 0
; COMPUTE_PGM_RSRC2:USER_SGPR: 12
; COMPUTE_PGM_RSRC2:TRAP_HANDLER: 0
; COMPUTE_PGM_RSRC2:TGID_X_EN: 1
; COMPUTE_PGM_RSRC2:TGID_Y_EN: 0
; COMPUTE_PGM_RSRC2:TGID_Z_EN: 0
; COMPUTE_PGM_RSRC2:TIDIG_COMP_CNT: 0
; COMPUTE_PGM_RSRC3_GFX90A:ACCUM_OFFSET: 2
; COMPUTE_PGM_RSRC3_GFX90A:TG_SPLIT: 0
	.text
	.p2alignl 6, 3212836864
	.fill 256, 4, 3212836864
	.section	.AMDGPU.gpr_maximums,"",@progbits
	.set amdgpu.max_num_vgpr, 0
	.set amdgpu.max_num_agpr, 0
	.set amdgpu.max_num_sgpr, 0
	.set amdgpu.max_num_named_barrier, 0
	.text
	.section	.debug_abbrev,"",@progbits
	.byte	1                               ; Abbreviation Code
	.byte	17                              ; DW_TAG_compile_unit
	.byte	1                               ; DW_CHILDREN_yes
	.byte	37                              ; DW_AT_producer
	.byte	14                              ; DW_FORM_strp
	.byte	19                              ; DW_AT_language
	.byte	5                               ; DW_FORM_data2
	.byte	3                               ; DW_AT_name
	.byte	14                              ; DW_FORM_strp
	.byte	16                              ; DW_AT_stmt_list
	.byte	23                              ; DW_FORM_sec_offset
	.byte	27                              ; DW_AT_comp_dir
	.byte	14                              ; DW_FORM_strp
	.byte	17                              ; DW_AT_low_pc
	.byte	1                               ; DW_FORM_addr
	.byte	18                              ; DW_AT_high_pc
	.byte	6                               ; DW_FORM_data4
	.byte	0                               ; EOM(1)
	.byte	0                               ; EOM(2)
	.byte	2                               ; Abbreviation Code
	.byte	46                              ; DW_TAG_subprogram
	.byte	0                               ; DW_CHILDREN_no
	.byte	3                               ; DW_AT_name
	.byte	14                              ; DW_FORM_strp
	.byte	32                              ; DW_AT_inline
	.byte	11                              ; DW_FORM_data1
	.byte	0                               ; EOM(1)
	.byte	0                               ; EOM(2)
	.byte	3                               ; Abbreviation Code
	.byte	46                              ; DW_TAG_subprogram
	.byte	1                               ; DW_CHILDREN_yes
	.byte	17                              ; DW_AT_low_pc
	.byte	1                               ; DW_FORM_addr
	.byte	18                              ; DW_AT_high_pc
	.byte	6                               ; DW_FORM_data4
	.byte	49                              ; DW_AT_abstract_origin
	.byte	19                              ; DW_FORM_ref4
	.byte	0                               ; EOM(1)
	.byte	0                               ; EOM(2)
	.byte	4                               ; Abbreviation Code
	.byte	29                              ; DW_TAG_inlined_subroutine
	.byte	1                               ; DW_CHILDREN_yes
	.byte	49                              ; DW_AT_abstract_origin
	.byte	19                              ; DW_FORM_ref4
	.byte	85                              ; DW_AT_ranges
	.byte	23                              ; DW_FORM_sec_offset
	.byte	88                              ; DW_AT_call_file
	.byte	11                              ; DW_FORM_data1
	.byte	89                              ; DW_AT_call_line
	.byte	11                              ; DW_FORM_data1
	.byte	87                              ; DW_AT_call_column
	.byte	11                              ; DW_FORM_data1
	.byte	0                               ; EOM(1)
	.byte	0                               ; EOM(2)
	.byte	5                               ; Abbreviation Code
	.byte	29                              ; DW_TAG_inlined_subroutine
	.byte	0                               ; DW_CHILDREN_no
	.byte	49                              ; DW_AT_abstract_origin
	.byte	19                              ; DW_FORM_ref4
	.byte	85                              ; DW_AT_ranges
	.byte	23                              ; DW_FORM_sec_offset
	.byte	88                              ; DW_AT_call_file
	.byte	11                              ; DW_FORM_data1
	.byte	89                              ; DW_AT_call_line
	.byte	5                               ; DW_FORM_data2
	.byte	87                              ; DW_AT_call_column
	.byte	11                              ; DW_FORM_data1
	.byte	0                               ; EOM(1)
	.byte	0                               ; EOM(2)
	;; [unrolled: 1-line block ×3, first 2 shown]
	.section	.debug_info,"",@progbits
.Lcu_begin0:
	.long	.Ldebug_info_end0-.Ldebug_info_start0 ; Length of Unit
.Ldebug_info_start0:
	.short	4                               ; DWARF version number
	.long	.debug_abbrev                   ; Offset Into Abbrev. Section
	.byte	8                               ; Address Size (in bytes)
	.byte	1                               ; Abbrev [1] 0xb:0x52 DW_TAG_compile_unit
	.long	.Linfo_string0                  ; DW_AT_producer
	.short	2                               ; DW_AT_language
	.long	.Linfo_string1                  ; DW_AT_name
	.long	.Lline_table_start0             ; DW_AT_stmt_list
	.long	.Linfo_string2                  ; DW_AT_comp_dir
	.quad	.Lfunc_begin0                   ; DW_AT_low_pc
	.long	.Lfunc_end0-.Lfunc_begin0       ; DW_AT_high_pc
	.byte	2                               ; Abbrev [2] 0x2a:0x6 DW_TAG_subprogram
	.long	.Linfo_string3                  ; DW_AT_name
	.byte	1                               ; DW_AT_inline
	.byte	3                               ; Abbrev [3] 0x30:0x2c DW_TAG_subprogram
	.quad	.Lfunc_begin0                   ; DW_AT_low_pc
	.long	.Lfunc_end0-.Lfunc_begin0       ; DW_AT_high_pc
	.long	42                              ; DW_AT_abstract_origin
	.byte	4                               ; Abbrev [4] 0x41:0x1a DW_TAG_inlined_subroutine
	.long	42                              ; DW_AT_abstract_origin
	.long	.Ldebug_ranges0                 ; DW_AT_ranges
	.byte	1                               ; DW_AT_call_file
	.byte	45                              ; DW_AT_call_line
	.byte	21                              ; DW_AT_call_column
	.byte	5                               ; Abbrev [5] 0x4d:0xd DW_TAG_inlined_subroutine
	.long	42                              ; DW_AT_abstract_origin
	.long	.Ldebug_ranges1                 ; DW_AT_ranges
	.byte	2                               ; DW_AT_call_file
	.short	293                             ; DW_AT_call_line
	.byte	36                              ; DW_AT_call_column
	.byte	0                               ; End Of Children Mark
	.byte	0                               ; End Of Children Mark
	;; [unrolled: 1-line block ×3, first 2 shown]
.Ldebug_info_end0:
	.section	.debug_ranges,"",@progbits
.Ldebug_ranges0:
	.quad	.Ltmp2-.Lfunc_begin0
	.quad	.Ltmp7-.Lfunc_begin0
	;; [unrolled: 1-line block ×8, first 2 shown]
	.quad	0
	.quad	0
.Ldebug_ranges1:
	.quad	.Ltmp3-.Lfunc_begin0
	.quad	.Ltmp4-.Lfunc_begin0
	;; [unrolled: 1-line block ×6, first 2 shown]
	.quad	0
	.quad	0
	.section	.debug_str,"MS",@progbits,1
.Linfo_string0:
	.asciz	"triton"                        ; string offset=0
.Linfo_string1:
	.asciz	"mean_aot.py"                   ; string offset=7
.Linfo_string2:
	.asciz	"/root/src/amdgpu-assembly/repos/FlagOpen__FlagGems/triton_aot_kernels" ; string offset=19
.Linfo_string3:
	.asciz	"mean_kernel_2"                 ; string offset=89
	.section	".note.GNU-stack","",@progbits
	.amdgpu_metadata
---
amdhsa.kernels:
  - .agpr_count:     0
    .args:
      - .address_space:  global
        .offset:         0
        .size:           8
        .value_kind:     global_buffer
      - .address_space:  global
        .offset:         8
        .size:           8
        .value_kind:     global_buffer
      - .offset:         16
        .size:           4
        .value_kind:     by_value
      - .offset:         20
        .size:           4
        .value_kind:     by_value
      - .address_space:  global
        .offset:         24
        .size:           8
        .value_kind:     global_buffer
      - .address_space:  global
        .offset:         32
        .size:           8
        .value_kind:     global_buffer
    .group_segment_fixed_size: 0
    .kernarg_segment_align: 8
    .kernarg_segment_size: 40
    .max_flat_workgroup_size: 256
    .name:           mean_kernel_2
    .private_segment_fixed_size: 0
    .sgpr_count:     18
    .sgpr_spill_count: 0
    .symbol:         mean_kernel_2.kd
    .uniform_work_group_size: 1
    .uses_dynamic_stack: false
    .vgpr_count:     10
    .vgpr_spill_count: 0
    .wavefront_size: 64
amdhsa.target:   amdgcn-amd-amdhsa--gfx950
amdhsa.version:
  - 1
  - 2
...

	.end_amdgpu_metadata
	.section	.debug_line,"",@progbits
.Lline_table_start0:
